;; amdgpu-corpus repo=ROCm/rocFFT kind=compiled arch=gfx906 opt=O3
	.text
	.amdgcn_target "amdgcn-amd-amdhsa--gfx906"
	.amdhsa_code_object_version 6
	.protected	fft_rtc_fwd_len704_factors_2_2_2_2_11_2_2_wgs_176_tpt_88_halfLds_sp_ip_CI_unitstride_sbrr_dirReg ; -- Begin function fft_rtc_fwd_len704_factors_2_2_2_2_11_2_2_wgs_176_tpt_88_halfLds_sp_ip_CI_unitstride_sbrr_dirReg
	.globl	fft_rtc_fwd_len704_factors_2_2_2_2_11_2_2_wgs_176_tpt_88_halfLds_sp_ip_CI_unitstride_sbrr_dirReg
	.p2align	8
	.type	fft_rtc_fwd_len704_factors_2_2_2_2_11_2_2_wgs_176_tpt_88_halfLds_sp_ip_CI_unitstride_sbrr_dirReg,@function
fft_rtc_fwd_len704_factors_2_2_2_2_11_2_2_wgs_176_tpt_88_halfLds_sp_ip_CI_unitstride_sbrr_dirReg: ; @fft_rtc_fwd_len704_factors_2_2_2_2_11_2_2_wgs_176_tpt_88_halfLds_sp_ip_CI_unitstride_sbrr_dirReg
; %bb.0:
	s_load_dwordx2 s[2:3], s[4:5], 0x50
	s_load_dwordx4 s[8:11], s[4:5], 0x0
	s_load_dwordx2 s[12:13], s[4:5], 0x18
	v_mul_u32_u24_e32 v1, 0x2e9, v0
	v_lshrrev_b32_e32 v20, 16, v1
	v_mov_b32_e32 v3, 0
	s_waitcnt lgkmcnt(0)
	v_cmp_lt_u64_e64 s[0:1], s[10:11], 2
	v_mov_b32_e32 v1, 0
	v_lshl_add_u32 v5, s6, 1, v20
	v_mov_b32_e32 v6, v3
	s_and_b64 vcc, exec, s[0:1]
	v_mov_b32_e32 v2, 0
	s_cbranch_vccnz .LBB0_8
; %bb.1:
	s_load_dwordx2 s[0:1], s[4:5], 0x10
	s_add_u32 s6, s12, 8
	s_addc_u32 s7, s13, 0
	v_mov_b32_e32 v1, 0
	v_mov_b32_e32 v2, 0
	s_waitcnt lgkmcnt(0)
	s_add_u32 s14, s0, 8
	s_addc_u32 s15, s1, 0
	s_mov_b64 s[16:17], 1
.LBB0_2:                                ; =>This Inner Loop Header: Depth=1
	s_load_dwordx2 s[18:19], s[14:15], 0x0
                                        ; implicit-def: $vgpr7_vgpr8
	s_waitcnt lgkmcnt(0)
	v_or_b32_e32 v4, s19, v6
	v_cmp_ne_u64_e32 vcc, 0, v[3:4]
	s_and_saveexec_b64 s[0:1], vcc
	s_xor_b64 s[20:21], exec, s[0:1]
	s_cbranch_execz .LBB0_4
; %bb.3:                                ;   in Loop: Header=BB0_2 Depth=1
	v_cvt_f32_u32_e32 v4, s18
	v_cvt_f32_u32_e32 v7, s19
	s_sub_u32 s0, 0, s18
	s_subb_u32 s1, 0, s19
	v_mac_f32_e32 v4, 0x4f800000, v7
	v_rcp_f32_e32 v4, v4
	v_mul_f32_e32 v4, 0x5f7ffffc, v4
	v_mul_f32_e32 v7, 0x2f800000, v4
	v_trunc_f32_e32 v7, v7
	v_mac_f32_e32 v4, 0xcf800000, v7
	v_cvt_u32_f32_e32 v7, v7
	v_cvt_u32_f32_e32 v4, v4
	v_mul_lo_u32 v8, s0, v7
	v_mul_hi_u32 v9, s0, v4
	v_mul_lo_u32 v11, s1, v4
	v_mul_lo_u32 v10, s0, v4
	v_add_u32_e32 v8, v9, v8
	v_add_u32_e32 v8, v8, v11
	v_mul_hi_u32 v9, v4, v10
	v_mul_lo_u32 v11, v4, v8
	v_mul_hi_u32 v13, v4, v8
	v_mul_hi_u32 v12, v7, v10
	v_mul_lo_u32 v10, v7, v10
	v_mul_hi_u32 v14, v7, v8
	v_add_co_u32_e32 v9, vcc, v9, v11
	v_addc_co_u32_e32 v11, vcc, 0, v13, vcc
	v_mul_lo_u32 v8, v7, v8
	v_add_co_u32_e32 v9, vcc, v9, v10
	v_addc_co_u32_e32 v9, vcc, v11, v12, vcc
	v_addc_co_u32_e32 v10, vcc, 0, v14, vcc
	v_add_co_u32_e32 v8, vcc, v9, v8
	v_addc_co_u32_e32 v9, vcc, 0, v10, vcc
	v_add_co_u32_e32 v4, vcc, v4, v8
	v_addc_co_u32_e32 v7, vcc, v7, v9, vcc
	v_mul_lo_u32 v8, s0, v7
	v_mul_hi_u32 v9, s0, v4
	v_mul_lo_u32 v10, s1, v4
	v_mul_lo_u32 v11, s0, v4
	v_add_u32_e32 v8, v9, v8
	v_add_u32_e32 v8, v8, v10
	v_mul_lo_u32 v12, v4, v8
	v_mul_hi_u32 v13, v4, v11
	v_mul_hi_u32 v14, v4, v8
	;; [unrolled: 1-line block ×3, first 2 shown]
	v_mul_lo_u32 v11, v7, v11
	v_mul_hi_u32 v9, v7, v8
	v_add_co_u32_e32 v12, vcc, v13, v12
	v_addc_co_u32_e32 v13, vcc, 0, v14, vcc
	v_mul_lo_u32 v8, v7, v8
	v_add_co_u32_e32 v11, vcc, v12, v11
	v_addc_co_u32_e32 v10, vcc, v13, v10, vcc
	v_addc_co_u32_e32 v9, vcc, 0, v9, vcc
	v_add_co_u32_e32 v8, vcc, v10, v8
	v_addc_co_u32_e32 v9, vcc, 0, v9, vcc
	v_add_co_u32_e32 v4, vcc, v4, v8
	v_addc_co_u32_e32 v9, vcc, v7, v9, vcc
	v_mad_u64_u32 v[7:8], s[0:1], v5, v9, 0
	v_mul_hi_u32 v10, v5, v4
	v_add_co_u32_e32 v11, vcc, v10, v7
	v_addc_co_u32_e32 v12, vcc, 0, v8, vcc
	v_mad_u64_u32 v[7:8], s[0:1], v6, v4, 0
	v_mad_u64_u32 v[9:10], s[0:1], v6, v9, 0
	v_add_co_u32_e32 v4, vcc, v11, v7
	v_addc_co_u32_e32 v4, vcc, v12, v8, vcc
	v_addc_co_u32_e32 v7, vcc, 0, v10, vcc
	v_add_co_u32_e32 v4, vcc, v4, v9
	v_addc_co_u32_e32 v9, vcc, 0, v7, vcc
	v_mul_lo_u32 v10, s19, v4
	v_mul_lo_u32 v11, s18, v9
	v_mad_u64_u32 v[7:8], s[0:1], s18, v4, 0
	v_add3_u32 v8, v8, v11, v10
	v_sub_u32_e32 v10, v6, v8
	v_mov_b32_e32 v11, s19
	v_sub_co_u32_e32 v7, vcc, v5, v7
	v_subb_co_u32_e64 v10, s[0:1], v10, v11, vcc
	v_subrev_co_u32_e64 v11, s[0:1], s18, v7
	v_subbrev_co_u32_e64 v10, s[0:1], 0, v10, s[0:1]
	v_cmp_le_u32_e64 s[0:1], s19, v10
	v_cndmask_b32_e64 v12, 0, -1, s[0:1]
	v_cmp_le_u32_e64 s[0:1], s18, v11
	v_cndmask_b32_e64 v11, 0, -1, s[0:1]
	v_cmp_eq_u32_e64 s[0:1], s19, v10
	v_cndmask_b32_e64 v10, v12, v11, s[0:1]
	v_add_co_u32_e64 v11, s[0:1], 2, v4
	v_addc_co_u32_e64 v12, s[0:1], 0, v9, s[0:1]
	v_add_co_u32_e64 v13, s[0:1], 1, v4
	v_addc_co_u32_e64 v14, s[0:1], 0, v9, s[0:1]
	v_subb_co_u32_e32 v8, vcc, v6, v8, vcc
	v_cmp_ne_u32_e64 s[0:1], 0, v10
	v_cmp_le_u32_e32 vcc, s19, v8
	v_cndmask_b32_e64 v10, v14, v12, s[0:1]
	v_cndmask_b32_e64 v12, 0, -1, vcc
	v_cmp_le_u32_e32 vcc, s18, v7
	v_cndmask_b32_e64 v7, 0, -1, vcc
	v_cmp_eq_u32_e32 vcc, s19, v8
	v_cndmask_b32_e32 v7, v12, v7, vcc
	v_cmp_ne_u32_e32 vcc, 0, v7
	v_cndmask_b32_e64 v7, v13, v11, s[0:1]
	v_cndmask_b32_e32 v8, v9, v10, vcc
	v_cndmask_b32_e32 v7, v4, v7, vcc
.LBB0_4:                                ;   in Loop: Header=BB0_2 Depth=1
	s_andn2_saveexec_b64 s[0:1], s[20:21]
	s_cbranch_execz .LBB0_6
; %bb.5:                                ;   in Loop: Header=BB0_2 Depth=1
	v_cvt_f32_u32_e32 v4, s18
	s_sub_i32 s20, 0, s18
	v_rcp_iflag_f32_e32 v4, v4
	v_mul_f32_e32 v4, 0x4f7ffffe, v4
	v_cvt_u32_f32_e32 v4, v4
	v_mul_lo_u32 v7, s20, v4
	v_mul_hi_u32 v7, v4, v7
	v_add_u32_e32 v4, v4, v7
	v_mul_hi_u32 v4, v5, v4
	v_mul_lo_u32 v7, v4, s18
	v_add_u32_e32 v8, 1, v4
	v_sub_u32_e32 v7, v5, v7
	v_subrev_u32_e32 v9, s18, v7
	v_cmp_le_u32_e32 vcc, s18, v7
	v_cndmask_b32_e32 v7, v7, v9, vcc
	v_cndmask_b32_e32 v4, v4, v8, vcc
	v_add_u32_e32 v8, 1, v4
	v_cmp_le_u32_e32 vcc, s18, v7
	v_cndmask_b32_e32 v7, v4, v8, vcc
	v_mov_b32_e32 v8, v3
.LBB0_6:                                ;   in Loop: Header=BB0_2 Depth=1
	s_or_b64 exec, exec, s[0:1]
	v_mul_lo_u32 v4, v8, s18
	v_mul_lo_u32 v11, v7, s19
	v_mad_u64_u32 v[9:10], s[0:1], v7, s18, 0
	s_load_dwordx2 s[0:1], s[6:7], 0x0
	s_add_u32 s16, s16, 1
	v_add3_u32 v4, v10, v11, v4
	v_sub_co_u32_e32 v5, vcc, v5, v9
	v_subb_co_u32_e32 v4, vcc, v6, v4, vcc
	s_waitcnt lgkmcnt(0)
	v_mul_lo_u32 v4, s0, v4
	v_mul_lo_u32 v6, s1, v5
	v_mad_u64_u32 v[1:2], s[0:1], s0, v5, v[1:2]
	s_addc_u32 s17, s17, 0
	s_add_u32 s6, s6, 8
	v_add3_u32 v2, v6, v2, v4
	v_mov_b32_e32 v4, s10
	v_mov_b32_e32 v5, s11
	s_addc_u32 s7, s7, 0
	v_cmp_ge_u64_e32 vcc, s[16:17], v[4:5]
	s_add_u32 s14, s14, 8
	s_addc_u32 s15, s15, 0
	s_cbranch_vccnz .LBB0_9
; %bb.7:                                ;   in Loop: Header=BB0_2 Depth=1
	v_mov_b32_e32 v5, v7
	v_mov_b32_e32 v6, v8
	s_branch .LBB0_2
.LBB0_8:
	v_mov_b32_e32 v8, v6
	v_mov_b32_e32 v7, v5
.LBB0_9:
	s_lshl_b64 s[0:1], s[10:11], 3
	s_add_u32 s0, s12, s0
	s_addc_u32 s1, s13, s1
	s_load_dwordx2 s[6:7], s[0:1], 0x0
	s_load_dwordx2 s[10:11], s[4:5], 0x20
	v_mov_b32_e32 v16, 0
	v_mov_b32_e32 v17, 0
	;; [unrolled: 1-line block ×3, first 2 shown]
	s_waitcnt lgkmcnt(0)
	v_mad_u64_u32 v[1:2], s[0:1], s6, v7, v[1:2]
	s_mov_b32 s0, 0x2e8ba2f
	v_mul_lo_u32 v3, s6, v8
	v_mul_lo_u32 v4, s7, v7
	v_mul_hi_u32 v5, v0, s0
	v_cmp_gt_u64_e64 s[0:1], s[10:11], v[7:8]
	v_mov_b32_e32 v8, v16
	v_add3_u32 v2, v4, v2, v3
	v_mul_u32_u24_e32 v3, 0x58, v5
	v_sub_u32_e32 v0, v0, v3
	v_lshlrev_b64 v[2:3], 3, v[1:2]
	v_mov_b32_e32 v4, v16
	v_mov_b32_e32 v11, v17
	;; [unrolled: 1-line block ×4, first 2 shown]
                                        ; implicit-def: $vgpr19
                                        ; implicit-def: $vgpr15
                                        ; implicit-def: $vgpr13
                                        ; implicit-def: $vgpr7
	s_and_saveexec_b64 s[4:5], s[0:1]
	s_cbranch_execz .LBB0_11
; %bb.10:
	v_mov_b32_e32 v1, 0
	v_mov_b32_e32 v4, s3
	v_add_co_u32_e32 v6, vcc, s2, v2
	v_addc_co_u32_e32 v7, vcc, v4, v3, vcc
	v_lshlrev_b64 v[4:5], 3, v[0:1]
	v_add_co_u32_e32 v21, vcc, v6, v4
	v_addc_co_u32_e32 v22, vcc, v7, v5, vcc
	v_add_co_u32_e32 v23, vcc, 0x1000, v21
	v_addc_co_u32_e32 v24, vcc, 0, v22, vcc
	global_load_dwordx2 v[16:17], v[21:22], off
	global_load_dwordx2 v[10:11], v[21:22], off offset:704
	global_load_dwordx2 v[4:5], v[21:22], off offset:1408
	global_load_dwordx2 v[8:9], v[21:22], off offset:2112
	global_load_dwordx2 v[18:19], v[21:22], off offset:2816
	global_load_dwordx2 v[14:15], v[21:22], off offset:3520
	global_load_dwordx2 v[12:13], v[23:24], off offset:128
	global_load_dwordx2 v[6:7], v[23:24], off offset:832
.LBB0_11:
	s_or_b64 exec, exec, s[4:5]
	s_waitcnt vmcnt(3)
	v_sub_f32_e32 v22, v16, v18
	v_and_b32_e32 v1, 1, v20
	v_fma_f32 v21, v16, 2.0, -v22
	v_mov_b32_e32 v16, 0x2c0
	v_cmp_eq_u32_e32 vcc, 1, v1
	v_cndmask_b32_e32 v31, 0, v16, vcc
	v_lshlrev_b32_e32 v1, 2, v31
	s_waitcnt vmcnt(2)
	v_sub_f32_e32 v20, v10, v14
	v_add_u32_e32 v14, 0x58, v0
	v_add_u32_e32 v26, 0, v1
	v_sub_f32_e32 v18, v17, v19
	v_fma_f32 v19, v10, 2.0, -v20
	v_lshl_add_u32 v10, v14, 3, v26
	ds_write_b64 v10, v[19:20]
	s_waitcnt vmcnt(1)
	v_sub_f32_e32 v20, v4, v12
	v_add_u32_e32 v28, 0xb0, v0
	v_lshl_add_u32 v16, v0, 3, 0
	v_fma_f32 v19, v4, 2.0, -v20
	v_lshl_add_u32 v4, v28, 3, v26
	v_lshlrev_b32_e32 v33, 2, v0
	ds_write_b64 v4, v[19:20]
	s_waitcnt vmcnt(0)
	v_sub_f32_e32 v20, v8, v6
	v_add_u32_e32 v27, 0x108, v0
	v_sub_u32_e32 v32, v16, v33
	v_sub_f32_e32 v6, v5, v13
	v_add_u32_e32 v25, v16, v1
	v_fma_f32 v19, v8, 2.0, -v20
	v_lshl_add_u32 v8, v27, 3, v26
	v_add_u32_e32 v29, v26, v33
	v_add_u32_e32 v30, v32, v1
	v_sub_f32_e32 v12, v11, v15
	v_fma_f32 v5, v5, 2.0, -v6
	ds_write_b64 v25, v[21:22]
	ds_write_b64 v8, v[19:20]
	s_waitcnt lgkmcnt(0)
	s_barrier
	v_add_u32_e32 v34, 0x400, v30
	v_add_u32_e32 v35, 0x600, v30
	ds_read_b32 v16, v29
	ds_read_b32 v36, v30 offset:2464
	ds_read2_b32 v[19:20], v34 offset0:8 offset1:96
	ds_read2_b32 v[21:22], v30 offset0:88 offset1:176
	;; [unrolled: 1-line block ×3, first 2 shown]
	s_waitcnt lgkmcnt(0)
	s_barrier
	v_fma_f32 v11, v11, 2.0, -v12
	ds_write_b64 v4, v[5:6]
	v_sub_f32_e32 v5, v9, v7
	ds_write_b64 v10, v[11:12]
	v_fma_f32 v4, v9, 2.0, -v5
	v_and_b32_e32 v12, 1, v0
	v_fma_f32 v17, v17, 2.0, -v18
	ds_write_b64 v8, v[4:5]
	v_lshlrev_b32_e32 v4, 3, v12
	ds_write_b64 v25, v[17:18]
	s_waitcnt lgkmcnt(0)
	s_barrier
	global_load_dwordx2 v[4:5], v4, s[8:9]
	ds_read2_b32 v[6:7], v35 offset0:56 offset1:144
	ds_read2_b32 v[8:9], v34 offset0:8 offset1:96
	ds_read_b32 v13, v30 offset:2464
	ds_read_b32 v15, v29
	ds_read2_b32 v[10:11], v30 offset0:88 offset1:176
	s_movk_i32 s4, 0xfc
	v_lshlrev_b32_e32 v25, 1, v0
	s_waitcnt vmcnt(0) lgkmcnt(0)
	s_barrier
	s_movk_i32 s5, 0x1f8
	s_movk_i32 s6, 0x3f0
	v_cmp_gt_u32_e32 vcc, 64, v0
	v_mul_f32_e32 v38, v24, v5
	v_mul_f32_e32 v41, v9, v5
	;; [unrolled: 1-line block ×8, first 2 shown]
	v_fmac_f32_e32 v38, v7, v4
	v_fma_f32 v7, v20, v4, -v41
	v_fma_f32 v17, v23, v4, -v17
	;; [unrolled: 1-line block ×3, first 2 shown]
	v_fmac_f32_e32 v37, v6, v4
	v_fma_f32 v6, v36, v4, -v39
	v_fmac_f32_e32 v40, v13, v4
	v_fmac_f32_e32 v5, v9, v4
	v_sub_f32_e32 v4, v16, v7
	v_and_or_b32 v9, v25, s4, v12
	v_fma_f32 v7, v16, 2.0, -v4
	v_lshl_add_u32 v9, v9, 2, v26
	v_lshlrev_b32_e32 v23, 1, v14
	s_movk_i32 s4, 0x1fc
	ds_write2_b32 v9, v7, v4 offset1:2
	v_sub_f32_e32 v4, v21, v17
	v_and_or_b32 v7, v23, s4, v12
	v_lshl_add_u32 v14, v7, 2, v26
	v_fma_f32 v7, v21, 2.0, -v4
	s_movk_i32 s4, 0x3fc
	v_lshlrev_b32_e32 v24, 1, v28
	ds_write2_b32 v14, v7, v4 offset1:2
	v_sub_f32_e32 v4, v22, v18
	v_and_or_b32 v13, v24, s4, v12
	v_fma_f32 v7, v22, 2.0, -v4
	v_lshl_add_u32 v16, v13, 2, v26
	v_lshlrev_b32_e32 v36, 1, v27
	ds_write2_b32 v16, v7, v4 offset1:2
	v_sub_f32_e32 v4, v19, v6
	v_and_or_b32 v7, v36, s4, v12
	v_sub_f32_e32 v18, v15, v5
	v_fma_f32 v6, v19, 2.0, -v4
	v_lshl_add_u32 v17, v7, 2, v26
	v_fma_f32 v15, v15, 2.0, -v18
	ds_write2_b32 v17, v6, v4 offset1:2
	s_waitcnt lgkmcnt(0)
	s_barrier
	ds_read_b32 v20, v29
	ds_read_b32 v39, v30 offset:2464
	ds_read2_b32 v[4:5], v34 offset0:8 offset1:96
	ds_read2_b32 v[6:7], v30 offset0:88 offset1:176
	ds_read2_b32 v[12:13], v35 offset0:56 offset1:144
	s_waitcnt lgkmcnt(0)
	s_barrier
	ds_write2_b32 v9, v15, v18 offset1:2
	v_sub_f32_e32 v9, v10, v37
	v_fma_f32 v10, v10, 2.0, -v9
	ds_write2_b32 v14, v10, v9 offset1:2
	v_sub_f32_e32 v9, v11, v38
	v_fma_f32 v10, v11, 2.0, -v9
	;; [unrolled: 3-line block ×3, first 2 shown]
	v_and_b32_e32 v14, 3, v0
	ds_write2_b32 v17, v8, v9 offset1:2
	v_lshlrev_b32_e32 v8, 3, v14
	s_waitcnt lgkmcnt(0)
	s_barrier
	global_load_dwordx2 v[8:9], v8, s[8:9] offset:16
	s_movk_i32 s4, 0xf8
	v_and_or_b32 v10, v25, s4, v14
	v_lshl_add_u32 v37, v10, 2, v26
	ds_read2_b32 v[10:11], v35 offset0:56 offset1:144
	ds_read2_b32 v[18:19], v34 offset0:8 offset1:96
	ds_read_b32 v16, v30 offset:2464
	ds_read_b32 v17, v29
	ds_read2_b32 v[21:22], v30 offset0:88 offset1:176
	v_and_or_b32 v15, v23, s5, v14
	s_waitcnt vmcnt(0) lgkmcnt(0)
	s_barrier
	s_movk_i32 s4, 0x3f8
	s_movk_i32 s5, 0x1f0
	v_mul_f32_e32 v45, v19, v9
	v_mul_f32_e32 v38, v10, v9
	;; [unrolled: 1-line block ×8, first 2 shown]
	v_fma_f32 v5, v5, v8, -v45
	v_fma_f32 v12, v12, v8, -v38
	v_sub_f32_e32 v5, v20, v5
	v_fma_f32 v13, v13, v8, -v40
	v_fmac_f32_e32 v41, v10, v8
	v_fmac_f32_e32 v42, v11, v8
	v_fma_f32 v10, v39, v8, -v43
	v_fmac_f32_e32 v44, v16, v8
	v_fmac_f32_e32 v9, v19, v8
	v_sub_f32_e32 v8, v6, v12
	v_fma_f32 v11, v20, 2.0, -v5
	ds_write2_b32 v37, v11, v5 offset1:4
	v_lshl_add_u32 v5, v15, 2, v26
	v_fma_f32 v6, v6, 2.0, -v8
	ds_write2_b32 v5, v6, v8 offset1:4
	v_sub_f32_e32 v6, v7, v13
	v_and_or_b32 v8, v24, s4, v14
	v_fma_f32 v7, v7, 2.0, -v6
	v_lshl_add_u32 v8, v8, 2, v26
	ds_write2_b32 v8, v7, v6 offset1:4
	v_sub_f32_e32 v6, v4, v10
	v_and_or_b32 v7, v36, s4, v14
	v_fma_f32 v4, v4, 2.0, -v6
	v_lshl_add_u32 v7, v7, 2, v26
	ds_write2_b32 v7, v4, v6 offset1:4
	v_sub_f32_e32 v4, v17, v9
	v_fma_f32 v6, v17, 2.0, -v4
	s_waitcnt lgkmcnt(0)
	s_barrier
	ds_read_b32 v9, v29
	ds_read_b32 v20, v30 offset:2464
	ds_read2_b32 v[16:17], v34 offset0:8 offset1:96
	ds_read2_b32 v[11:12], v30 offset0:88 offset1:176
	;; [unrolled: 1-line block ×3, first 2 shown]
	s_waitcnt lgkmcnt(0)
	s_barrier
	ds_write2_b32 v37, v6, v4 offset1:4
	v_sub_f32_e32 v4, v21, v41
	v_fma_f32 v6, v21, 2.0, -v4
	ds_write2_b32 v5, v6, v4 offset1:4
	v_sub_f32_e32 v4, v22, v42
	v_fma_f32 v5, v22, 2.0, -v4
	;; [unrolled: 3-line block ×3, first 2 shown]
	ds_write2_b32 v7, v5, v4 offset1:4
	v_and_b32_e32 v4, 7, v0
	v_lshlrev_b32_e32 v5, 3, v4
	s_waitcnt lgkmcnt(0)
	s_barrier
	global_load_dwordx2 v[18:19], v5, s[8:9] offset:48
	s_movk_i32 s4, 0xf0
	v_and_or_b32 v5, v25, s4, v4
	v_and_or_b32 v6, v23, s5, v4
	;; [unrolled: 1-line block ×4, first 2 shown]
	v_lshl_add_u32 v36, v5, 2, v26
	v_lshl_add_u32 v37, v6, 2, v26
	;; [unrolled: 1-line block ×4, first 2 shown]
	ds_read2_b32 v[21:22], v34 offset0:8 offset1:96
	ds_read2_b32 v[23:24], v35 offset0:56 offset1:144
	ds_read_b32 v34, v29
	ds_read_b32 v40, v30 offset:2464
	ds_read2_b32 v[25:26], v30 offset0:88 offset1:176
	s_waitcnt vmcnt(0) lgkmcnt(0)
	s_barrier
	s_waitcnt lgkmcnt(0)
                                        ; implicit-def: $vgpr13
	v_mul_f32_e32 v4, v22, v19
	v_mul_f32_e32 v5, v23, v19
	;; [unrolled: 1-line block ×4, first 2 shown]
	v_fma_f32 v8, v17, v18, -v4
	v_fma_f32 v4, v14, v18, -v5
	v_fma_f32 v5, v15, v18, -v6
	v_fma_f32 v7, v20, v18, -v7
	v_sub_f32_e32 v4, v11, v4
	v_sub_f32_e32 v6, v12, v5
	;; [unrolled: 1-line block ×4, first 2 shown]
	v_fma_f32 v5, v12, 2.0, -v6
	v_fma_f32 v11, v11, 2.0, -v4
	;; [unrolled: 1-line block ×4, first 2 shown]
	ds_write2_b32 v36, v35, v10 offset1:8
	ds_write2_b32 v37, v11, v4 offset1:8
	;; [unrolled: 1-line block ×4, first 2 shown]
	s_waitcnt lgkmcnt(0)
	s_barrier
	s_and_saveexec_b64 s[4:5], vcc
	s_cbranch_execz .LBB0_13
; %bb.12:
	v_add3_u32 v12, 0, v33, v1
	ds_read_b32 v35, v29
	ds_read2st64_b32 v[10:11], v12 offset0:1 offset1:2
	ds_read2st64_b32 v[4:5], v12 offset0:3 offset1:4
	;; [unrolled: 1-line block ×5, first 2 shown]
.LBB0_13:
	s_or_b64 exec, exec, s[4:5]
	v_mul_f32_e32 v16, v17, v19
	v_fmac_f32_e32 v16, v22, v18
	v_mul_f32_e32 v17, v14, v19
	v_mul_f32_e32 v22, v15, v19
	;; [unrolled: 1-line block ×3, first 2 shown]
	v_fmac_f32_e32 v17, v23, v18
	v_fmac_f32_e32 v22, v24, v18
	;; [unrolled: 1-line block ×3, first 2 shown]
	v_sub_f32_e32 v14, v34, v16
	v_sub_f32_e32 v16, v25, v17
	;; [unrolled: 1-line block ×4, first 2 shown]
	v_fma_f32 v34, v34, 2.0, -v14
	v_fma_f32 v15, v25, 2.0, -v16
	;; [unrolled: 1-line block ×4, first 2 shown]
	s_waitcnt lgkmcnt(0)
	s_barrier
	ds_write2_b32 v36, v34, v14 offset1:8
	ds_write2_b32 v37, v15, v16 offset1:8
	;; [unrolled: 1-line block ×4, first 2 shown]
	s_waitcnt lgkmcnt(0)
	s_barrier
	s_waitcnt lgkmcnt(0)
                                        ; implicit-def: $vgpr23
	s_and_saveexec_b64 s[4:5], vcc
	s_cbranch_execz .LBB0_15
; %bb.14:
	v_add3_u32 v22, 0, v33, v1
	ds_read_b32 v34, v29
	ds_read2st64_b32 v[14:15], v22 offset0:1 offset1:2
	ds_read2st64_b32 v[16:17], v22 offset0:3 offset1:4
	;; [unrolled: 1-line block ×5, first 2 shown]
.LBB0_15:
	s_or_b64 exec, exec, s[4:5]
	v_and_b32_e32 v24, 15, v0
	v_mul_u32_u24_e32 v25, 10, v24
	v_lshlrev_b32_e32 v25, 3, v25
	global_load_dwordx4 v[45:48], v25, s[8:9] offset:112
	global_load_dwordx4 v[49:52], v25, s[8:9] offset:128
	;; [unrolled: 1-line block ×5, first 2 shown]
	s_waitcnt vmcnt(0) lgkmcnt(0)
	s_barrier
	v_mul_f32_e32 v39, v14, v46
	v_mul_f32_e32 v43, v10, v46
	;; [unrolled: 1-line block ×17, first 2 shown]
	v_fma_f32 v44, v10, v45, -v39
	v_mul_f32_e32 v42, v12, v62
	v_mul_f32_e32 v10, v23, v64
	v_fmac_f32_e32 v43, v14, v45
	v_mul_f32_e32 v45, v13, v64
	v_fma_f32 v41, v11, v47, -v41
	v_fmac_f32_e32 v40, v15, v47
	v_fma_f32 v39, v4, v49, -v46
	v_fma_f32 v15, v5, v51, -v48
	v_fmac_f32_e32 v37, v16, v49
	v_fmac_f32_e32 v33, v17, v51
	v_fma_f32 v11, v6, v53, -v50
	v_fma_f32 v14, v7, v55, -v52
	v_fmac_f32_e32 v25, v18, v53
	;; [unrolled: 4-line block ×3, first 2 shown]
	v_fmac_f32_e32 v38, v21, v59
	v_fma_f32 v12, v12, v61, -v58
	v_fmac_f32_e32 v42, v22, v61
	v_fma_f32 v13, v13, v63, -v10
	v_fmac_f32_e32 v45, v23, v63
	v_lshrrev_b32_e32 v10, 4, v0
	s_and_saveexec_b64 s[4:5], vcc
	s_cbranch_execz .LBB0_17
; %bb.16:
	v_sub_f32_e32 v5, v43, v45
	v_mul_f32_e32 v6, 0xbe903f40, v5
	v_sub_f32_e32 v9, v40, v42
	v_add_f32_e32 v4, v44, v13
	v_mov_b32_e32 v7, v6
	v_mul_f32_e32 v17, 0x3f0a6770, v9
	v_fmac_f32_e32 v7, 0xbf75a155, v4
	v_add_f32_e32 v8, v41, v12
	v_mov_b32_e32 v18, v17
	v_sub_f32_e32 v20, v37, v38
	v_add_f32_e32 v7, v35, v7
	v_fmac_f32_e32 v18, 0x3f575c64, v8
	v_mul_f32_e32 v21, 0xbf4178ce, v20
	s_mov_b32 s7, 0xbf75a155
	v_add_f32_e32 v7, v18, v7
	v_add_f32_e32 v18, v39, v19
	v_mov_b32_e32 v22, v21
	v_sub_f32_e32 v23, v33, v36
	s_mov_b32 s10, 0x3f575c64
	v_fma_f32 v6, v4, s7, -v6
	v_fmac_f32_e32 v22, 0xbf27a4f4, v18
	v_mul_f32_e32 v46, 0x3f68dda4, v23
	v_add_f32_e32 v6, v35, v6
	v_fma_f32 v17, v8, s10, -v17
	s_mov_b32 s11, 0xbf27a4f4
	v_add_f32_e32 v7, v22, v7
	v_add_f32_e32 v22, v15, v16
	v_mov_b32_e32 v47, v46
	v_add_f32_e32 v6, v17, v6
	v_fma_f32 v17, v18, s11, -v21
	s_mov_b32 s12, 0x3ed4b147
	v_fmac_f32_e32 v47, 0x3ed4b147, v22
	v_sub_f32_e32 v48, v25, v26
	v_add_f32_e32 v6, v17, v6
	v_fma_f32 v17, v22, s12, -v46
	v_add_f32_e32 v7, v47, v7
	s_mov_b32 s6, 0xbe11bafb
	v_add_f32_e32 v47, v11, v14
	v_mul_f32_e32 v49, 0xbf7d64f0, v48
	v_add_f32_e32 v6, v17, v6
	v_mul_f32_e32 v17, 0xbf4178ce, v5
	v_fma_f32 v50, v47, s6, -v49
	v_fmac_f32_e32 v49, 0xbe11bafb, v47
	v_mov_b32_e32 v21, v17
	v_mul_f32_e32 v46, 0x3f7d64f0, v9
	v_add_f32_e32 v7, v49, v7
	v_fmac_f32_e32 v21, 0xbf27a4f4, v4
	v_mov_b32_e32 v49, v46
	v_add_f32_e32 v21, v35, v21
	v_fmac_f32_e32 v49, 0xbe11bafb, v8
	v_add_f32_e32 v21, v49, v21
	v_mul_f32_e32 v49, 0xbf0a6770, v20
	v_add_f32_e32 v6, v50, v6
	v_mov_b32_e32 v50, v49
	v_fmac_f32_e32 v50, 0x3f575c64, v18
	v_add_f32_e32 v21, v50, v21
	v_mul_f32_e32 v50, 0xbe903f40, v23
	v_fma_f32 v17, v4, s11, -v17
	v_fma_f32 v51, v22, s7, -v50
	v_fmac_f32_e32 v50, 0xbf75a155, v22
	v_add_f32_e32 v17, v35, v17
	v_fma_f32 v46, v8, s6, -v46
	v_add_f32_e32 v21, v50, v21
	v_mul_f32_e32 v50, 0x3f68dda4, v48
	v_add_f32_e32 v17, v46, v17
	v_fma_f32 v46, v18, s10, -v49
	v_fma_f32 v52, v47, s12, -v50
	v_fmac_f32_e32 v50, 0x3ed4b147, v47
	v_add_f32_e32 v17, v46, v17
	v_mul_f32_e32 v46, 0xbf7d64f0, v5
	v_add_f32_e32 v21, v50, v21
	v_mov_b32_e32 v49, v46
	v_mul_f32_e32 v50, 0x3e903f40, v9
	v_add_f32_e32 v17, v51, v17
	v_fmac_f32_e32 v49, 0xbe11bafb, v4
	v_mov_b32_e32 v51, v50
	v_add_f32_e32 v49, v35, v49
	v_fmac_f32_e32 v51, 0xbf75a155, v8
	v_add_f32_e32 v49, v51, v49
	v_mul_f32_e32 v51, 0x3f68dda4, v20
	v_add_f32_e32 v17, v52, v17
	v_mov_b32_e32 v52, v51
	v_fmac_f32_e32 v52, 0x3ed4b147, v18
	v_add_f32_e32 v49, v52, v49
	v_mul_f32_e32 v52, 0xbf0a6770, v23
	v_fma_f32 v46, v4, s6, -v46
	v_fma_f32 v53, v22, s10, -v52
	v_fmac_f32_e32 v52, 0x3f575c64, v22
	v_add_f32_e32 v46, v35, v46
	v_fma_f32 v50, v8, s7, -v50
	v_add_f32_e32 v49, v52, v49
	v_mul_f32_e32 v52, 0xbf4178ce, v48
	v_add_f32_e32 v46, v50, v46
	v_fma_f32 v50, v18, s12, -v51
	v_fma_f32 v54, v47, s11, -v52
	v_fmac_f32_e32 v52, 0xbf27a4f4, v47
	v_add_f32_e32 v46, v50, v46
	v_mul_f32_e32 v50, 0xbf68dda4, v5
	v_add_f32_e32 v49, v52, v49
	v_mov_b32_e32 v51, v50
	v_mul_f32_e32 v52, 0xbf4178ce, v9
	v_add_f32_e32 v46, v53, v46
	v_fmac_f32_e32 v51, 0x3ed4b147, v4
	v_mov_b32_e32 v53, v52
	v_add_f32_e32 v51, v35, v51
	v_fmac_f32_e32 v53, 0xbf27a4f4, v8
	v_fma_f32 v50, v4, s12, -v50
	v_add_f32_e32 v51, v53, v51
	v_mul_f32_e32 v53, 0x3e903f40, v20
	v_add_f32_e32 v50, v35, v50
	v_fma_f32 v52, v8, s11, -v52
	v_add_f32_e32 v50, v52, v50
	v_fma_f32 v52, v18, s7, -v53
	v_mul_f32_e32 v5, 0xbf0a6770, v5
	v_add_f32_e32 v46, v54, v46
	v_mov_b32_e32 v54, v53
	v_add_f32_e32 v50, v52, v50
	v_mov_b32_e32 v52, v5
	v_fmac_f32_e32 v54, 0xbf75a155, v18
	v_fmac_f32_e32 v52, 0x3f575c64, v4
	v_mul_f32_e32 v9, 0xbf68dda4, v9
	v_fma_f32 v4, v4, s10, -v5
	v_add_f32_e32 v51, v54, v51
	v_mul_f32_e32 v54, 0x3f7d64f0, v23
	v_mul_f32_e32 v20, 0xbf7d64f0, v20
	v_fma_f32 v5, v8, s12, -v9
	v_add_f32_e32 v4, v35, v4
	v_fma_f32 v55, v22, s6, -v54
	v_fmac_f32_e32 v54, 0xbe11bafb, v22
	v_mul_f32_e32 v23, 0xbf4178ce, v23
	v_add_f32_e32 v4, v5, v4
	v_fma_f32 v5, v18, s6, -v20
	v_add_f32_e32 v51, v54, v51
	v_mul_f32_e32 v54, 0x3f0a6770, v48
	v_mul_f32_e32 v48, 0xbe903f40, v48
	v_add_f32_e32 v4, v5, v4
	v_fma_f32 v5, v22, s11, -v23
	v_add_f32_e32 v4, v5, v4
	v_fma_f32 v5, v47, s7, -v48
	v_add_f32_e32 v4, v5, v4
	v_add_f32_e32 v5, v35, v44
	;; [unrolled: 1-line block ×3, first 2 shown]
	v_mov_b32_e32 v53, v9
	v_add_f32_e32 v5, v5, v39
	v_add_f32_e32 v52, v35, v52
	v_fmac_f32_e32 v53, 0x3ed4b147, v8
	v_add_f32_e32 v5, v5, v15
	v_add_f32_e32 v52, v53, v52
	v_mov_b32_e32 v53, v20
	v_add_f32_e32 v5, v5, v11
	v_fmac_f32_e32 v53, 0xbe11bafb, v18
	v_add_f32_e32 v5, v5, v14
	v_add_f32_e32 v52, v53, v52
	v_mov_b32_e32 v53, v23
	v_add_f32_e32 v5, v5, v16
	v_mul_u32_u24_e32 v8, 0xb0, v10
	v_fmac_f32_e32 v53, 0xbf27a4f4, v22
	v_add_f32_e32 v5, v5, v19
	v_or_b32_e32 v8, v8, v24
	v_add_f32_e32 v52, v53, v52
	v_mov_b32_e32 v53, v48
	v_add_f32_e32 v5, v5, v12
	v_lshlrev_b32_e32 v8, 2, v8
	v_fma_f32 v56, v47, s10, -v54
	v_fmac_f32_e32 v54, 0x3f575c64, v47
	v_add_f32_e32 v50, v55, v50
	v_fmac_f32_e32 v53, 0xbf75a155, v47
	v_add_f32_e32 v5, v5, v13
	v_add3_u32 v8, 0, v8, v1
	v_add_f32_e32 v51, v54, v51
	v_add_f32_e32 v50, v56, v50
	;; [unrolled: 1-line block ×3, first 2 shown]
	ds_write2_b32 v8, v5, v4 offset1:16
	ds_write2_b32 v8, v50, v46 offset0:32 offset1:48
	ds_write2_b32 v8, v17, v6 offset0:64 offset1:80
	;; [unrolled: 1-line block ×4, first 2 shown]
	ds_write_b32 v8, v52 offset:640
.LBB0_17:
	s_or_b64 exec, exec, s[4:5]
	v_add_u32_e32 v17, 0x400, v30
	v_add_u32_e32 v18, 0x600, v30
	s_waitcnt lgkmcnt(0)
	s_barrier
	ds_read2_b32 v[4:5], v17 offset0:8 offset1:96
	ds_read2_b32 v[6:7], v30 offset0:88 offset1:176
	;; [unrolled: 1-line block ×3, first 2 shown]
	ds_read_b32 v20, v29
	ds_read_b32 v21, v30 offset:2464
	s_waitcnt lgkmcnt(0)
	s_barrier
	s_and_saveexec_b64 s[4:5], vcc
	s_cbranch_execz .LBB0_19
; %bb.18:
	v_add_f32_e32 v22, v34, v43
	v_add_f32_e32 v22, v22, v40
	;; [unrolled: 1-line block ×7, first 2 shown]
	v_sub_f32_e32 v13, v44, v13
	v_add_f32_e32 v22, v22, v38
	v_mul_f32_e32 v35, 0xbf0a6770, v13
	v_mul_f32_e32 v44, 0xbf68dda4, v13
	;; [unrolled: 1-line block ×5, first 2 shown]
	v_add_f32_e32 v22, v22, v42
	v_add_f32_e32 v23, v43, v45
	s_mov_b32 s6, 0x3f575c64
	s_mov_b32 s7, 0x3ed4b147
	;; [unrolled: 1-line block ×5, first 2 shown]
	v_mov_b32_e32 v50, v13
	v_add_f32_e32 v22, v22, v45
	v_fma_f32 v43, v23, s6, -v35
	v_fmac_f32_e32 v35, 0x3f575c64, v23
	v_fma_f32 v45, v23, s7, -v44
	v_fmac_f32_e32 v44, 0x3ed4b147, v23
	;; [unrolled: 2-line block ×4, first 2 shown]
	v_fmac_f32_e32 v50, 0xbf75a155, v23
	v_fma_f32 v13, v23, s12, -v13
	v_sub_f32_e32 v12, v41, v12
	v_add_f32_e32 v35, v34, v35
	v_add_f32_e32 v43, v34, v43
	;; [unrolled: 1-line block ×11, first 2 shown]
	v_mul_f32_e32 v34, 0xbf68dda4, v12
	v_fma_f32 v40, v23, s7, -v34
	v_fmac_f32_e32 v34, 0x3ed4b147, v23
	v_add_f32_e32 v34, v34, v35
	v_add_f32_e32 v35, v40, v43
	v_mul_f32_e32 v40, 0xbf4178ce, v12
	v_fma_f32 v41, v23, s11, -v40
	v_fmac_f32_e32 v40, 0xbf27a4f4, v23
	v_mul_f32_e32 v42, 0x3e903f40, v12
	v_add_f32_e32 v40, v40, v44
	v_fma_f32 v43, v23, s12, -v42
	v_fmac_f32_e32 v42, 0xbf75a155, v23
	v_mul_f32_e32 v44, 0x3f7d64f0, v12
	v_mul_f32_e32 v12, 0x3f0a6770, v12
	v_add_f32_e32 v42, v42, v46
	v_mov_b32_e32 v46, v12
	v_fma_f32 v12, v23, s6, -v12
	v_sub_f32_e32 v19, v39, v19
	v_add_f32_e32 v41, v41, v45
	v_fma_f32 v45, v23, s10, -v44
	v_fmac_f32_e32 v44, 0xbe11bafb, v23
	v_fmac_f32_e32 v46, 0x3f575c64, v23
	v_add_f32_e32 v12, v12, v13
	v_add_f32_e32 v13, v37, v38
	v_mul_f32_e32 v23, 0xbf7d64f0, v19
	v_fma_f32 v37, v13, s10, -v23
	v_fmac_f32_e32 v23, 0xbe11bafb, v13
	v_add_f32_e32 v23, v23, v34
	v_add_f32_e32 v34, v37, v35
	v_mul_f32_e32 v35, 0x3e903f40, v19
	v_fma_f32 v37, v13, s12, -v35
	v_fmac_f32_e32 v35, 0xbf75a155, v13
	v_mul_f32_e32 v38, 0x3f68dda4, v19
	v_add_f32_e32 v35, v35, v40
	v_fma_f32 v39, v13, s7, -v38
	v_fmac_f32_e32 v38, 0x3ed4b147, v13
	v_mul_f32_e32 v40, 0xbf0a6770, v19
	v_mul_f32_e32 v19, 0xbf4178ce, v19
	v_add_f32_e32 v38, v38, v42
	v_mov_b32_e32 v42, v19
	v_add_f32_e32 v37, v37, v41
	v_fma_f32 v41, v13, s6, -v40
	v_fmac_f32_e32 v40, 0x3f575c64, v13
	v_fmac_f32_e32 v42, 0xbf27a4f4, v13
	v_fma_f32 v13, v13, s11, -v19
	v_sub_f32_e32 v15, v15, v16
	v_add_f32_e32 v12, v13, v12
	v_add_f32_e32 v13, v33, v36
	v_mul_f32_e32 v16, 0xbf4178ce, v15
	v_fma_f32 v19, v13, s11, -v16
	v_fmac_f32_e32 v16, 0xbf27a4f4, v13
	v_add_f32_e32 v16, v16, v23
	v_mul_f32_e32 v23, 0x3f7d64f0, v15
	v_add_f32_e32 v19, v19, v34
	v_fma_f32 v33, v13, s10, -v23
	v_fmac_f32_e32 v23, 0xbe11bafb, v13
	v_mul_f32_e32 v34, 0xbf0a6770, v15
	v_add_f32_e32 v23, v23, v35
	v_fma_f32 v35, v13, s6, -v34
	v_fmac_f32_e32 v34, 0x3f575c64, v13
	v_mul_f32_e32 v36, 0xbe903f40, v15
	v_mul_f32_e32 v15, 0x3f68dda4, v15
	v_add_f32_e32 v34, v34, v38
	v_mov_b32_e32 v38, v15
	v_add_f32_e32 v33, v33, v37
	v_fma_f32 v37, v13, s12, -v36
	v_fmac_f32_e32 v36, 0xbf75a155, v13
	v_fmac_f32_e32 v38, 0x3ed4b147, v13
	v_fma_f32 v13, v13, s7, -v15
	v_sub_f32_e32 v11, v11, v14
	v_add_f32_e32 v12, v13, v12
	v_add_f32_e32 v13, v25, v26
	v_mul_f32_e32 v14, 0xbe903f40, v11
	v_fma_f32 v15, v13, s12, -v14
	v_fmac_f32_e32 v14, 0xbf75a155, v13
	v_add_f32_e32 v14, v14, v16
	v_mul_f32_e32 v16, 0x3f0a6770, v11
	v_add_f32_e32 v15, v15, v19
	v_fma_f32 v19, v13, s6, -v16
	v_fmac_f32_e32 v16, 0x3f575c64, v13
	v_add_f32_e32 v16, v16, v23
	v_mul_f32_e32 v23, 0xbf4178ce, v11
	v_mul_u32_u24_e32 v10, 0xb0, v10
	v_add_f32_e32 v43, v43, v47
	v_add_f32_e32 v44, v44, v48
	;; [unrolled: 1-line block ×4, first 2 shown]
	v_fma_f32 v25, v13, s11, -v23
	v_fmac_f32_e32 v23, 0xbf27a4f4, v13
	v_mul_f32_e32 v26, 0x3f68dda4, v11
	v_mul_f32_e32 v11, 0xbf7d64f0, v11
	v_or_b32_e32 v10, v10, v24
	v_add_f32_e32 v39, v39, v43
	v_add_f32_e32 v40, v40, v44
	;; [unrolled: 1-line block ×5, first 2 shown]
	v_mov_b32_e32 v34, v11
	v_lshlrev_b32_e32 v10, 2, v10
	v_add_f32_e32 v35, v35, v39
	v_add_f32_e32 v36, v36, v40
	;; [unrolled: 1-line block ×5, first 2 shown]
	v_fma_f32 v33, v13, s7, -v26
	v_fmac_f32_e32 v26, 0x3ed4b147, v13
	v_fmac_f32_e32 v34, 0xbe11bafb, v13
	v_fma_f32 v11, v13, s10, -v11
	v_add3_u32 v1, 0, v10, v1
	v_add_f32_e32 v25, v25, v35
	v_add_f32_e32 v26, v26, v36
	;; [unrolled: 1-line block ×5, first 2 shown]
	ds_write2_b32 v1, v22, v14 offset1:16
	ds_write2_b32 v1, v16, v23 offset0:32 offset1:48
	ds_write2_b32 v1, v26, v34 offset0:64 offset1:80
	;; [unrolled: 1-line block ×4, first 2 shown]
	ds_write_b32 v1, v15 offset:640
.LBB0_19:
	s_or_b64 exec, exec, s[4:5]
	v_mov_b32_e32 v1, 0
	v_lshlrev_b64 v[10:11], 3, v[0:1]
	v_mov_b32_e32 v0, s9
	v_add_co_u32_e32 v12, vcc, s8, v10
	v_addc_co_u32_e32 v13, vcc, v0, v11, vcc
	s_waitcnt lgkmcnt(0)
	s_barrier
	global_load_dwordx2 v[14:15], v[12:13], off offset:1392
	global_load_dwordx2 v[22:23], v[12:13], off offset:2096
	v_lshl_add_u32 v0, v31, 2, v32
	ds_read2_b32 v[24:25], v17 offset0:8 offset1:96
	ds_read2_b32 v[31:32], v30 offset0:88 offset1:176
	ds_read2_b32 v[33:34], v18 offset0:56 offset1:144
	ds_read_b32 v16, v29
	ds_read_b32 v19, v30 offset:2464
	v_add_u32_e32 v26, 0x200, v30
	v_add_u32_e32 v35, 0x400, v0
	s_waitcnt vmcnt(0) lgkmcnt(0)
	s_barrier
	v_mul_f32_e32 v36, v25, v15
	v_mul_f32_e32 v37, v5, v15
	;; [unrolled: 1-line block ×7, first 2 shown]
	v_fma_f32 v5, v5, v14, -v36
	v_fmac_f32_e32 v37, v25, v14
	v_fma_f32 v8, v8, v22, -v38
	v_fma_f32 v9, v9, v14, -v40
	v_fmac_f32_e32 v15, v34, v14
	v_fma_f32 v14, v21, v22, -v41
	v_mul_f32_e32 v23, v21, v23
	v_sub_f32_e32 v5, v20, v5
	v_sub_f32_e32 v8, v6, v8
	;; [unrolled: 1-line block ×4, first 2 shown]
	v_fmac_f32_e32 v39, v33, v22
	v_fmac_f32_e32 v23, v19, v22
	v_sub_f32_e32 v22, v32, v15
	v_fma_f32 v15, v20, 2.0, -v5
	v_fma_f32 v6, v6, 2.0, -v8
	;; [unrolled: 1-line block ×4, first 2 shown]
	ds_write_b32 v30, v9 offset:2112
	ds_write_b32 v0, v14 offset:2464
	ds_write2_b32 v30, v15, v6 offset1:88
	ds_write2_b32 v26, v5, v7 offset0:48 offset1:224
	ds_write2_b32 v35, v8, v4 offset0:8 offset1:184
	s_waitcnt lgkmcnt(0)
	s_barrier
	ds_read2_b32 v[6:7], v17 offset0:8 offset1:96
	ds_read2_b32 v[4:5], v30 offset0:88 offset1:176
	;; [unrolled: 1-line block ×3, first 2 shown]
	ds_read_b32 v14, v29
	ds_read_b32 v15, v30 offset:2464
	v_sub_f32_e32 v19, v16, v37
	v_sub_f32_e32 v21, v31, v39
	;; [unrolled: 1-line block ×3, first 2 shown]
	v_fma_f32 v16, v16, 2.0, -v19
	v_fma_f32 v20, v31, 2.0, -v21
	;; [unrolled: 1-line block ×4, first 2 shown]
	s_waitcnt lgkmcnt(0)
	s_barrier
	ds_write2_b32 v30, v16, v20 offset1:88
	ds_write2_b32 v26, v19, v25 offset0:48 offset1:224
	ds_write_b32 v30, v22 offset:2112
	ds_write2_b32 v35, v21, v24 offset0:8 offset1:184
	ds_write_b32 v0, v23 offset:2464
	s_waitcnt lgkmcnt(0)
	s_barrier
	s_and_saveexec_b64 s[4:5], s[0:1]
	s_cbranch_execz .LBB0_21
; %bb.20:
	v_add_co_u32_e32 v16, vcc, 0x1000, v12
	v_addc_co_u32_e32 v17, vcc, 0, v13, vcc
	global_load_dwordx2 v[18:19], v[16:17], off offset:816
	global_load_dwordx2 v[20:21], v[16:17], off offset:112
	;; [unrolled: 1-line block ×4, first 2 shown]
	v_add_u32_e32 v0, 0x400, v30
	v_add_u32_e32 v26, 0x600, v30
	s_mov_b32 s0, 0xba2e8ba3
	ds_read2_b32 v[12:13], v30 offset0:88 offset1:176
	ds_read_b32 v31, v30 offset:2464
	ds_read_b32 v32, v29
	ds_read2_b32 v[16:17], v0 offset0:8 offset1:96
	ds_read2_b32 v[29:30], v26 offset0:56 offset1:144
	v_mul_hi_u32 v26, v28, s0
	v_mov_b32_e32 v33, s3
	v_add_co_u32_e32 v0, vcc, s2, v2
	v_addc_co_u32_e32 v3, vcc, v33, v3, vcc
	v_mul_hi_u32 v27, v27, s0
	v_add_co_u32_e32 v2, vcc, v0, v10
	v_lshrrev_b32_e32 v0, 8, v26
	v_mul_u32_u24_e32 v0, 0x160, v0
	v_addc_co_u32_e32 v3, vcc, v3, v11, vcc
	v_lshlrev_b64 v[10:11], 3, v[0:1]
	v_lshrrev_b32_e32 v26, 8, v27
	v_add_co_u32_e32 v10, vcc, v2, v10
	s_movk_i32 s1, 0x580
	v_mul_u32_u24_e32 v0, 0x160, v26
	v_addc_co_u32_e32 v11, vcc, v3, v11, vcc
	v_lshlrev_b64 v[0:1], 3, v[0:1]
	v_add_co_u32_e32 v26, vcc, s1, v10
	v_addc_co_u32_e32 v27, vcc, 0, v11, vcc
	v_add_co_u32_e32 v0, vcc, v2, v0
	v_addc_co_u32_e32 v1, vcc, v3, v1, vcc
	v_add_co_u32_e32 v28, vcc, 0x840, v0
	s_waitcnt vmcnt(3)
	v_mul_f32_e32 v33, v15, v19
	s_waitcnt lgkmcnt(3)
	v_mul_f32_e32 v19, v31, v19
	s_waitcnt vmcnt(2)
	v_mul_f32_e32 v34, v9, v21
	s_waitcnt lgkmcnt(0)
	v_mul_f32_e32 v21, v30, v21
	s_waitcnt vmcnt(1)
	v_mul_f32_e32 v35, v8, v23
	v_mul_f32_e32 v23, v29, v23
	s_waitcnt vmcnt(0)
	v_mul_f32_e32 v36, v7, v25
	v_mul_f32_e32 v25, v17, v25
	v_fmac_f32_e32 v33, v31, v18
	v_fma_f32 v15, v15, v18, -v19
	v_fmac_f32_e32 v34, v30, v20
	v_fma_f32 v9, v9, v20, -v21
	;; [unrolled: 2-line block ×4, first 2 shown]
	v_sub_f32_e32 v8, v16, v33
	v_sub_f32_e32 v7, v6, v15
	;; [unrolled: 1-line block ×8, first 2 shown]
	v_fma_f32 v16, v16, 2.0, -v8
	v_fma_f32 v15, v6, 2.0, -v7
	;; [unrolled: 1-line block ×8, first 2 shown]
	global_store_dwordx2 v[2:3], v[21:22], off offset:2816
	global_store_dwordx2 v[2:3], v[19:20], off offset:3520
	;; [unrolled: 1-line block ×3, first 2 shown]
	global_store_dwordx2 v[2:3], v[23:24], off
	global_store_dwordx2 v[2:3], v[12:13], off offset:704
	global_store_dwordx2 v[10:11], v[5:6], off offset:1408
	v_addc_co_u32_e32 v29, vcc, 0, v1, vcc
	global_store_dwordx2 v[0:1], v[15:16], off offset:2112
	global_store_dwordx2 v[28:29], v[7:8], off offset:2816
.LBB0_21:
	s_endpgm
	.section	.rodata,"a",@progbits
	.p2align	6, 0x0
	.amdhsa_kernel fft_rtc_fwd_len704_factors_2_2_2_2_11_2_2_wgs_176_tpt_88_halfLds_sp_ip_CI_unitstride_sbrr_dirReg
		.amdhsa_group_segment_fixed_size 0
		.amdhsa_private_segment_fixed_size 0
		.amdhsa_kernarg_size 88
		.amdhsa_user_sgpr_count 6
		.amdhsa_user_sgpr_private_segment_buffer 1
		.amdhsa_user_sgpr_dispatch_ptr 0
		.amdhsa_user_sgpr_queue_ptr 0
		.amdhsa_user_sgpr_kernarg_segment_ptr 1
		.amdhsa_user_sgpr_dispatch_id 0
		.amdhsa_user_sgpr_flat_scratch_init 0
		.amdhsa_user_sgpr_private_segment_size 0
		.amdhsa_uses_dynamic_stack 0
		.amdhsa_system_sgpr_private_segment_wavefront_offset 0
		.amdhsa_system_sgpr_workgroup_id_x 1
		.amdhsa_system_sgpr_workgroup_id_y 0
		.amdhsa_system_sgpr_workgroup_id_z 0
		.amdhsa_system_sgpr_workgroup_info 0
		.amdhsa_system_vgpr_workitem_id 0
		.amdhsa_next_free_vgpr 65
		.amdhsa_next_free_sgpr 22
		.amdhsa_reserve_vcc 1
		.amdhsa_reserve_flat_scratch 0
		.amdhsa_float_round_mode_32 0
		.amdhsa_float_round_mode_16_64 0
		.amdhsa_float_denorm_mode_32 3
		.amdhsa_float_denorm_mode_16_64 3
		.amdhsa_dx10_clamp 1
		.amdhsa_ieee_mode 1
		.amdhsa_fp16_overflow 0
		.amdhsa_exception_fp_ieee_invalid_op 0
		.amdhsa_exception_fp_denorm_src 0
		.amdhsa_exception_fp_ieee_div_zero 0
		.amdhsa_exception_fp_ieee_overflow 0
		.amdhsa_exception_fp_ieee_underflow 0
		.amdhsa_exception_fp_ieee_inexact 0
		.amdhsa_exception_int_div_zero 0
	.end_amdhsa_kernel
	.text
.Lfunc_end0:
	.size	fft_rtc_fwd_len704_factors_2_2_2_2_11_2_2_wgs_176_tpt_88_halfLds_sp_ip_CI_unitstride_sbrr_dirReg, .Lfunc_end0-fft_rtc_fwd_len704_factors_2_2_2_2_11_2_2_wgs_176_tpt_88_halfLds_sp_ip_CI_unitstride_sbrr_dirReg
                                        ; -- End function
	.section	.AMDGPU.csdata,"",@progbits
; Kernel info:
; codeLenInByte = 6468
; NumSgprs: 26
; NumVgprs: 65
; ScratchSize: 0
; MemoryBound: 0
; FloatMode: 240
; IeeeMode: 1
; LDSByteSize: 0 bytes/workgroup (compile time only)
; SGPRBlocks: 3
; VGPRBlocks: 16
; NumSGPRsForWavesPerEU: 26
; NumVGPRsForWavesPerEU: 65
; Occupancy: 3
; WaveLimiterHint : 1
; COMPUTE_PGM_RSRC2:SCRATCH_EN: 0
; COMPUTE_PGM_RSRC2:USER_SGPR: 6
; COMPUTE_PGM_RSRC2:TRAP_HANDLER: 0
; COMPUTE_PGM_RSRC2:TGID_X_EN: 1
; COMPUTE_PGM_RSRC2:TGID_Y_EN: 0
; COMPUTE_PGM_RSRC2:TGID_Z_EN: 0
; COMPUTE_PGM_RSRC2:TIDIG_COMP_CNT: 0
	.type	__hip_cuid_33af5b2340363177,@object ; @__hip_cuid_33af5b2340363177
	.section	.bss,"aw",@nobits
	.globl	__hip_cuid_33af5b2340363177
__hip_cuid_33af5b2340363177:
	.byte	0                               ; 0x0
	.size	__hip_cuid_33af5b2340363177, 1

	.ident	"AMD clang version 19.0.0git (https://github.com/RadeonOpenCompute/llvm-project roc-6.4.0 25133 c7fe45cf4b819c5991fe208aaa96edf142730f1d)"
	.section	".note.GNU-stack","",@progbits
	.addrsig
	.addrsig_sym __hip_cuid_33af5b2340363177
	.amdgpu_metadata
---
amdhsa.kernels:
  - .args:
      - .actual_access:  read_only
        .address_space:  global
        .offset:         0
        .size:           8
        .value_kind:     global_buffer
      - .offset:         8
        .size:           8
        .value_kind:     by_value
      - .actual_access:  read_only
        .address_space:  global
        .offset:         16
        .size:           8
        .value_kind:     global_buffer
      - .actual_access:  read_only
        .address_space:  global
        .offset:         24
        .size:           8
        .value_kind:     global_buffer
      - .offset:         32
        .size:           8
        .value_kind:     by_value
      - .actual_access:  read_only
        .address_space:  global
        .offset:         40
        .size:           8
        .value_kind:     global_buffer
      - .actual_access:  read_only
        .address_space:  global
        .offset:         48
        .size:           8
        .value_kind:     global_buffer
      - .offset:         56
        .size:           4
        .value_kind:     by_value
      - .actual_access:  read_only
        .address_space:  global
        .offset:         64
        .size:           8
        .value_kind:     global_buffer
      - .actual_access:  read_only
        .address_space:  global
        .offset:         72
        .size:           8
        .value_kind:     global_buffer
      - .address_space:  global
        .offset:         80
        .size:           8
        .value_kind:     global_buffer
    .group_segment_fixed_size: 0
    .kernarg_segment_align: 8
    .kernarg_segment_size: 88
    .language:       OpenCL C
    .language_version:
      - 2
      - 0
    .max_flat_workgroup_size: 176
    .name:           fft_rtc_fwd_len704_factors_2_2_2_2_11_2_2_wgs_176_tpt_88_halfLds_sp_ip_CI_unitstride_sbrr_dirReg
    .private_segment_fixed_size: 0
    .sgpr_count:     26
    .sgpr_spill_count: 0
    .symbol:         fft_rtc_fwd_len704_factors_2_2_2_2_11_2_2_wgs_176_tpt_88_halfLds_sp_ip_CI_unitstride_sbrr_dirReg.kd
    .uniform_work_group_size: 1
    .uses_dynamic_stack: false
    .vgpr_count:     65
    .vgpr_spill_count: 0
    .wavefront_size: 64
amdhsa.target:   amdgcn-amd-amdhsa--gfx906
amdhsa.version:
  - 1
  - 2
...

	.end_amdgpu_metadata
